;; amdgpu-corpus repo=ROCm/rocFFT kind=compiled arch=gfx1201 opt=O3
	.text
	.amdgcn_target "amdgcn-amd-amdhsa--gfx1201"
	.amdhsa_code_object_version 6
	.protected	fft_rtc_back_len1404_factors_2_2_3_13_3_3_wgs_117_tpt_117_halfLds_dp_ip_CI_unitstride_sbrr_dirReg ; -- Begin function fft_rtc_back_len1404_factors_2_2_3_13_3_3_wgs_117_tpt_117_halfLds_dp_ip_CI_unitstride_sbrr_dirReg
	.globl	fft_rtc_back_len1404_factors_2_2_3_13_3_3_wgs_117_tpt_117_halfLds_dp_ip_CI_unitstride_sbrr_dirReg
	.p2align	8
	.type	fft_rtc_back_len1404_factors_2_2_3_13_3_3_wgs_117_tpt_117_halfLds_dp_ip_CI_unitstride_sbrr_dirReg,@function
fft_rtc_back_len1404_factors_2_2_3_13_3_3_wgs_117_tpt_117_halfLds_dp_ip_CI_unitstride_sbrr_dirReg: ; @fft_rtc_back_len1404_factors_2_2_3_13_3_3_wgs_117_tpt_117_halfLds_dp_ip_CI_unitstride_sbrr_dirReg
; %bb.0:
	s_clause 0x2
	s_load_b128 s[4:7], s[0:1], 0x0
	s_load_b64 s[8:9], s[0:1], 0x50
	s_load_b64 s[10:11], s[0:1], 0x18
	v_mul_u32_u24_e32 v1, 0x231, v0
	v_mov_b32_e32 v3, 0
	s_delay_alu instid0(VALU_DEP_2) | instskip(NEXT) | instid1(VALU_DEP_1)
	v_lshrrev_b32_e32 v1, 16, v1
	v_add_nc_u32_e32 v5, ttmp9, v1
	v_mov_b32_e32 v1, 0
	v_mov_b32_e32 v2, 0
	;; [unrolled: 1-line block ×3, first 2 shown]
	s_wait_kmcnt 0x0
	v_cmp_lt_u64_e64 s2, s[6:7], 2
	s_delay_alu instid0(VALU_DEP_1)
	s_and_b32 vcc_lo, exec_lo, s2
	s_cbranch_vccnz .LBB0_8
; %bb.1:
	s_load_b64 s[2:3], s[0:1], 0x10
	v_mov_b32_e32 v1, 0
	v_mov_b32_e32 v2, 0
	s_add_nc_u64 s[12:13], s[10:11], 8
	s_mov_b64 s[14:15], 1
	s_wait_kmcnt 0x0
	s_add_nc_u64 s[16:17], s[2:3], 8
	s_mov_b32 s3, 0
.LBB0_2:                                ; =>This Inner Loop Header: Depth=1
	s_load_b64 s[18:19], s[16:17], 0x0
                                        ; implicit-def: $vgpr7_vgpr8
	s_mov_b32 s2, exec_lo
	s_wait_kmcnt 0x0
	v_or_b32_e32 v4, s19, v6
	s_delay_alu instid0(VALU_DEP_1)
	v_cmpx_ne_u64_e32 0, v[3:4]
	s_wait_alu 0xfffe
	s_xor_b32 s20, exec_lo, s2
	s_cbranch_execz .LBB0_4
; %bb.3:                                ;   in Loop: Header=BB0_2 Depth=1
	s_cvt_f32_u32 s2, s18
	s_cvt_f32_u32 s21, s19
	s_sub_nc_u64 s[24:25], 0, s[18:19]
	s_wait_alu 0xfffe
	s_delay_alu instid0(SALU_CYCLE_1) | instskip(SKIP_1) | instid1(SALU_CYCLE_2)
	s_fmamk_f32 s2, s21, 0x4f800000, s2
	s_wait_alu 0xfffe
	v_s_rcp_f32 s2, s2
	s_delay_alu instid0(TRANS32_DEP_1) | instskip(SKIP_1) | instid1(SALU_CYCLE_2)
	s_mul_f32 s2, s2, 0x5f7ffffc
	s_wait_alu 0xfffe
	s_mul_f32 s21, s2, 0x2f800000
	s_wait_alu 0xfffe
	s_delay_alu instid0(SALU_CYCLE_2) | instskip(SKIP_1) | instid1(SALU_CYCLE_2)
	s_trunc_f32 s21, s21
	s_wait_alu 0xfffe
	s_fmamk_f32 s2, s21, 0xcf800000, s2
	s_cvt_u32_f32 s23, s21
	s_wait_alu 0xfffe
	s_delay_alu instid0(SALU_CYCLE_1) | instskip(SKIP_1) | instid1(SALU_CYCLE_2)
	s_cvt_u32_f32 s22, s2
	s_wait_alu 0xfffe
	s_mul_u64 s[26:27], s[24:25], s[22:23]
	s_wait_alu 0xfffe
	s_mul_hi_u32 s29, s22, s27
	s_mul_i32 s28, s22, s27
	s_mul_hi_u32 s2, s22, s26
	s_mul_i32 s30, s23, s26
	s_wait_alu 0xfffe
	s_add_nc_u64 s[28:29], s[2:3], s[28:29]
	s_mul_hi_u32 s21, s23, s26
	s_mul_hi_u32 s31, s23, s27
	s_add_co_u32 s2, s28, s30
	s_wait_alu 0xfffe
	s_add_co_ci_u32 s2, s29, s21
	s_mul_i32 s26, s23, s27
	s_add_co_ci_u32 s27, s31, 0
	s_wait_alu 0xfffe
	s_add_nc_u64 s[26:27], s[2:3], s[26:27]
	s_wait_alu 0xfffe
	v_add_co_u32 v4, s2, s22, s26
	s_delay_alu instid0(VALU_DEP_1) | instskip(SKIP_1) | instid1(VALU_DEP_1)
	s_cmp_lg_u32 s2, 0
	s_add_co_ci_u32 s23, s23, s27
	v_readfirstlane_b32 s22, v4
	s_wait_alu 0xfffe
	s_delay_alu instid0(VALU_DEP_1)
	s_mul_u64 s[24:25], s[24:25], s[22:23]
	s_wait_alu 0xfffe
	s_mul_hi_u32 s27, s22, s25
	s_mul_i32 s26, s22, s25
	s_mul_hi_u32 s2, s22, s24
	s_mul_i32 s28, s23, s24
	s_wait_alu 0xfffe
	s_add_nc_u64 s[26:27], s[2:3], s[26:27]
	s_mul_hi_u32 s21, s23, s24
	s_mul_hi_u32 s22, s23, s25
	s_wait_alu 0xfffe
	s_add_co_u32 s2, s26, s28
	s_add_co_ci_u32 s2, s27, s21
	s_mul_i32 s24, s23, s25
	s_add_co_ci_u32 s25, s22, 0
	s_wait_alu 0xfffe
	s_add_nc_u64 s[24:25], s[2:3], s[24:25]
	s_wait_alu 0xfffe
	v_add_co_u32 v4, s2, v4, s24
	s_delay_alu instid0(VALU_DEP_1) | instskip(SKIP_1) | instid1(VALU_DEP_1)
	s_cmp_lg_u32 s2, 0
	s_add_co_ci_u32 s2, s23, s25
	v_mul_hi_u32 v13, v5, v4
	s_wait_alu 0xfffe
	v_mad_co_u64_u32 v[7:8], null, v5, s2, 0
	v_mad_co_u64_u32 v[9:10], null, v6, v4, 0
	;; [unrolled: 1-line block ×3, first 2 shown]
	s_delay_alu instid0(VALU_DEP_3) | instskip(SKIP_1) | instid1(VALU_DEP_4)
	v_add_co_u32 v4, vcc_lo, v13, v7
	s_wait_alu 0xfffd
	v_add_co_ci_u32_e32 v7, vcc_lo, 0, v8, vcc_lo
	s_delay_alu instid0(VALU_DEP_2) | instskip(SKIP_1) | instid1(VALU_DEP_2)
	v_add_co_u32 v4, vcc_lo, v4, v9
	s_wait_alu 0xfffd
	v_add_co_ci_u32_e32 v4, vcc_lo, v7, v10, vcc_lo
	s_wait_alu 0xfffd
	v_add_co_ci_u32_e32 v7, vcc_lo, 0, v12, vcc_lo
	s_delay_alu instid0(VALU_DEP_2) | instskip(SKIP_1) | instid1(VALU_DEP_2)
	v_add_co_u32 v4, vcc_lo, v4, v11
	s_wait_alu 0xfffd
	v_add_co_ci_u32_e32 v9, vcc_lo, 0, v7, vcc_lo
	s_delay_alu instid0(VALU_DEP_2) | instskip(SKIP_1) | instid1(VALU_DEP_3)
	v_mul_lo_u32 v10, s19, v4
	v_mad_co_u64_u32 v[7:8], null, s18, v4, 0
	v_mul_lo_u32 v11, s18, v9
	s_delay_alu instid0(VALU_DEP_2) | instskip(NEXT) | instid1(VALU_DEP_2)
	v_sub_co_u32 v7, vcc_lo, v5, v7
	v_add3_u32 v8, v8, v11, v10
	s_delay_alu instid0(VALU_DEP_1) | instskip(SKIP_1) | instid1(VALU_DEP_1)
	v_sub_nc_u32_e32 v10, v6, v8
	s_wait_alu 0xfffd
	v_subrev_co_ci_u32_e64 v10, s2, s19, v10, vcc_lo
	v_add_co_u32 v11, s2, v4, 2
	s_wait_alu 0xf1ff
	v_add_co_ci_u32_e64 v12, s2, 0, v9, s2
	v_sub_co_u32 v13, s2, v7, s18
	v_sub_co_ci_u32_e32 v8, vcc_lo, v6, v8, vcc_lo
	s_wait_alu 0xf1ff
	v_subrev_co_ci_u32_e64 v10, s2, 0, v10, s2
	s_delay_alu instid0(VALU_DEP_3) | instskip(NEXT) | instid1(VALU_DEP_3)
	v_cmp_le_u32_e32 vcc_lo, s18, v13
	v_cmp_eq_u32_e64 s2, s19, v8
	s_wait_alu 0xfffd
	v_cndmask_b32_e64 v13, 0, -1, vcc_lo
	v_cmp_le_u32_e32 vcc_lo, s19, v10
	s_wait_alu 0xfffd
	v_cndmask_b32_e64 v14, 0, -1, vcc_lo
	v_cmp_le_u32_e32 vcc_lo, s18, v7
	;; [unrolled: 3-line block ×3, first 2 shown]
	s_wait_alu 0xfffd
	v_cndmask_b32_e64 v15, 0, -1, vcc_lo
	v_cmp_eq_u32_e32 vcc_lo, s19, v10
	s_wait_alu 0xf1ff
	s_delay_alu instid0(VALU_DEP_2)
	v_cndmask_b32_e64 v7, v15, v7, s2
	s_wait_alu 0xfffd
	v_cndmask_b32_e32 v10, v14, v13, vcc_lo
	v_add_co_u32 v13, vcc_lo, v4, 1
	s_wait_alu 0xfffd
	v_add_co_ci_u32_e32 v14, vcc_lo, 0, v9, vcc_lo
	s_delay_alu instid0(VALU_DEP_3) | instskip(SKIP_2) | instid1(VALU_DEP_3)
	v_cmp_ne_u32_e32 vcc_lo, 0, v10
	s_wait_alu 0xfffd
	v_cndmask_b32_e32 v10, v13, v11, vcc_lo
	v_cndmask_b32_e32 v8, v14, v12, vcc_lo
	v_cmp_ne_u32_e32 vcc_lo, 0, v7
	s_wait_alu 0xfffd
	s_delay_alu instid0(VALU_DEP_2)
	v_dual_cndmask_b32 v7, v4, v10 :: v_dual_cndmask_b32 v8, v9, v8
.LBB0_4:                                ;   in Loop: Header=BB0_2 Depth=1
	s_wait_alu 0xfffe
	s_and_not1_saveexec_b32 s2, s20
	s_cbranch_execz .LBB0_6
; %bb.5:                                ;   in Loop: Header=BB0_2 Depth=1
	v_cvt_f32_u32_e32 v4, s18
	s_sub_co_i32 s20, 0, s18
	s_delay_alu instid0(VALU_DEP_1) | instskip(NEXT) | instid1(TRANS32_DEP_1)
	v_rcp_iflag_f32_e32 v4, v4
	v_mul_f32_e32 v4, 0x4f7ffffe, v4
	s_delay_alu instid0(VALU_DEP_1) | instskip(SKIP_1) | instid1(VALU_DEP_1)
	v_cvt_u32_f32_e32 v4, v4
	s_wait_alu 0xfffe
	v_mul_lo_u32 v7, s20, v4
	s_delay_alu instid0(VALU_DEP_1) | instskip(NEXT) | instid1(VALU_DEP_1)
	v_mul_hi_u32 v7, v4, v7
	v_add_nc_u32_e32 v4, v4, v7
	s_delay_alu instid0(VALU_DEP_1) | instskip(NEXT) | instid1(VALU_DEP_1)
	v_mul_hi_u32 v4, v5, v4
	v_mul_lo_u32 v7, v4, s18
	v_add_nc_u32_e32 v8, 1, v4
	s_delay_alu instid0(VALU_DEP_2) | instskip(NEXT) | instid1(VALU_DEP_1)
	v_sub_nc_u32_e32 v7, v5, v7
	v_subrev_nc_u32_e32 v9, s18, v7
	v_cmp_le_u32_e32 vcc_lo, s18, v7
	s_wait_alu 0xfffd
	s_delay_alu instid0(VALU_DEP_2) | instskip(NEXT) | instid1(VALU_DEP_1)
	v_dual_cndmask_b32 v7, v7, v9 :: v_dual_cndmask_b32 v4, v4, v8
	v_cmp_le_u32_e32 vcc_lo, s18, v7
	s_delay_alu instid0(VALU_DEP_2) | instskip(SKIP_1) | instid1(VALU_DEP_1)
	v_add_nc_u32_e32 v8, 1, v4
	s_wait_alu 0xfffd
	v_dual_cndmask_b32 v7, v4, v8 :: v_dual_mov_b32 v8, v3
.LBB0_6:                                ;   in Loop: Header=BB0_2 Depth=1
	s_wait_alu 0xfffe
	s_or_b32 exec_lo, exec_lo, s2
	s_load_b64 s[20:21], s[12:13], 0x0
	s_delay_alu instid0(VALU_DEP_1)
	v_mul_lo_u32 v4, v8, s18
	v_mul_lo_u32 v11, v7, s19
	v_mad_co_u64_u32 v[9:10], null, v7, s18, 0
	s_add_nc_u64 s[14:15], s[14:15], 1
	s_add_nc_u64 s[12:13], s[12:13], 8
	s_wait_alu 0xfffe
	v_cmp_ge_u64_e64 s2, s[14:15], s[6:7]
	s_add_nc_u64 s[16:17], s[16:17], 8
	s_delay_alu instid0(VALU_DEP_2) | instskip(NEXT) | instid1(VALU_DEP_3)
	v_add3_u32 v4, v10, v11, v4
	v_sub_co_u32 v5, vcc_lo, v5, v9
	s_wait_alu 0xfffd
	s_delay_alu instid0(VALU_DEP_2) | instskip(SKIP_3) | instid1(VALU_DEP_2)
	v_sub_co_ci_u32_e32 v4, vcc_lo, v6, v4, vcc_lo
	s_and_b32 vcc_lo, exec_lo, s2
	s_wait_kmcnt 0x0
	v_mul_lo_u32 v6, s21, v5
	v_mul_lo_u32 v4, s20, v4
	v_mad_co_u64_u32 v[1:2], null, s20, v5, v[1:2]
	s_delay_alu instid0(VALU_DEP_1)
	v_add3_u32 v2, v6, v2, v4
	s_wait_alu 0xfffe
	s_cbranch_vccnz .LBB0_9
; %bb.7:                                ;   in Loop: Header=BB0_2 Depth=1
	v_dual_mov_b32 v5, v7 :: v_dual_mov_b32 v6, v8
	s_branch .LBB0_2
.LBB0_8:
	v_dual_mov_b32 v8, v6 :: v_dual_mov_b32 v7, v5
.LBB0_9:
	s_lshl_b64 s[2:3], s[6:7], 3
	v_mul_hi_u32 v5, 0x2302303, v0
	s_wait_alu 0xfffe
	s_add_nc_u64 s[2:3], s[10:11], s[2:3]
                                        ; implicit-def: $vgpr46_vgpr47
                                        ; implicit-def: $vgpr22_vgpr23
                                        ; implicit-def: $vgpr42_vgpr43
                                        ; implicit-def: $vgpr18_vgpr19
                                        ; implicit-def: $vgpr38_vgpr39
                                        ; implicit-def: $vgpr14_vgpr15
                                        ; implicit-def: $vgpr34_vgpr35
                                        ; implicit-def: $vgpr10_vgpr11
                                        ; implicit-def: $vgpr30_vgpr31
                                        ; implicit-def: $vgpr26_vgpr27
	s_load_b64 s[2:3], s[2:3], 0x0
	s_load_b64 s[0:1], s[0:1], 0x20
	s_wait_kmcnt 0x0
	v_mul_lo_u32 v3, s2, v8
	v_mul_lo_u32 v4, s3, v7
	v_mad_co_u64_u32 v[1:2], null, s2, v7, v[1:2]
	v_cmp_gt_u64_e32 vcc_lo, s[0:1], v[7:8]
                                        ; implicit-def: $vgpr6_vgpr7
	s_delay_alu instid0(VALU_DEP_2) | instskip(SKIP_1) | instid1(VALU_DEP_2)
	v_add3_u32 v2, v4, v2, v3
	v_mul_u32_u24_e32 v3, 0x75, v5
	v_lshlrev_b64_e32 v[48:49], 4, v[1:2]
	s_delay_alu instid0(VALU_DEP_2)
	v_sub_nc_u32_e32 v50, v0, v3
                                        ; implicit-def: $vgpr2_vgpr3
	s_and_saveexec_b32 s1, vcc_lo
; %bb.10:
	v_mov_b32_e32 v51, 0
	s_delay_alu instid0(VALU_DEP_3) | instskip(SKIP_2) | instid1(VALU_DEP_3)
	v_add_co_u32 v2, s0, s8, v48
	s_wait_alu 0xf1ff
	v_add_co_ci_u32_e64 v3, s0, s9, v49, s0
	v_lshlrev_b64_e32 v[0:1], 4, v[50:51]
	s_delay_alu instid0(VALU_DEP_1) | instskip(SKIP_1) | instid1(VALU_DEP_2)
	v_add_co_u32 v44, s0, v2, v0
	s_wait_alu 0xf1ff
	v_add_co_ci_u32_e64 v45, s0, v3, v1, s0
	s_clause 0xb
	global_load_b128 v[0:3], v[44:45], off
	global_load_b128 v[4:7], v[44:45], off offset:1872
	global_load_b128 v[24:27], v[44:45], off offset:11232
	global_load_b128 v[28:31], v[44:45], off offset:13104
	global_load_b128 v[8:11], v[44:45], off offset:3744
	global_load_b128 v[12:15], v[44:45], off offset:5616
	global_load_b128 v[32:35], v[44:45], off offset:14976
	global_load_b128 v[36:39], v[44:45], off offset:16848
	global_load_b128 v[16:19], v[44:45], off offset:7488
	global_load_b128 v[20:23], v[44:45], off offset:9360
	global_load_b128 v[40:43], v[44:45], off offset:18720
	global_load_b128 v[44:47], v[44:45], off offset:20592
; %bb.11:
	s_wait_alu 0xfffe
	s_or_b32 exec_lo, exec_lo, s1
	s_wait_loadcnt 0x9
	v_add_f64_e64 v[59:60], v[0:1], -v[24:25]
	v_add_f64_e64 v[63:64], v[2:3], -v[26:27]
	s_wait_loadcnt 0x8
	v_add_f64_e64 v[28:29], v[4:5], -v[28:29]
	v_add_f64_e64 v[67:68], v[6:7], -v[30:31]
	s_wait_loadcnt 0x5
	v_add_f64_e64 v[32:33], v[8:9], -v[32:33]
	v_add_f64_e64 v[71:72], v[10:11], -v[34:35]
	s_wait_loadcnt 0x4
	v_add_f64_e64 v[36:37], v[12:13], -v[36:37]
	v_add_f64_e64 v[77:78], v[14:15], -v[38:39]
	s_wait_loadcnt 0x1
	v_add_f64_e64 v[40:41], v[16:17], -v[40:41]
	v_add_f64_e64 v[81:82], v[18:19], -v[42:43]
	s_wait_loadcnt 0x0
	v_add_f64_e64 v[44:45], v[20:21], -v[44:45]
	v_add_f64_e64 v[24:25], v[22:23], -v[46:47]
	v_add_nc_u32_e32 v56, 0x75, v50
	v_add_nc_u32_e32 v89, 0x15f, v50
	;; [unrolled: 1-line block ×4, first 2 shown]
	v_and_b32_e32 v84, 1, v50
	v_add_nc_u32_e32 v73, 0x1d4, v50
	v_and_b32_e32 v85, 1, v56
	v_and_b32_e32 v86, 1, v89
	;; [unrolled: 1-line block ×3, first 2 shown]
	v_lshl_add_u32 v46, v54, 4, 0
	v_lshl_add_u32 v47, v89, 4, 0
	v_lshlrev_b32_e32 v55, 4, v84
	v_lshl_add_u32 v51, v73, 4, 0
	v_lshlrev_b32_e32 v90, 4, v85
	v_lshl_add_u32 v53, v83, 4, 0
	v_and_b32_e32 v112, 3, v50
	v_and_b32_e32 v113, 3, v56
	;; [unrolled: 1-line block ×4, first 2 shown]
	s_mov_b32 s2, 0xe8584caa
	s_mov_b32 s3, 0xbfebb67a
	;; [unrolled: 1-line block ×3, first 2 shown]
	s_wait_alu 0xfffe
	s_mov_b32 s6, s2
	v_cmp_gt_u32_e64 s0, 0x6c, v50
	v_fma_f64 v[57:58], v[0:1], 2.0, -v[59:60]
	v_fma_f64 v[61:62], v[2:3], 2.0, -v[63:64]
	;; [unrolled: 1-line block ×12, first 2 shown]
	v_lshl_add_u32 v20, v50, 4, 0
	v_lshlrev_b32_e32 v0, 3, v50
	v_lshl_add_u32 v21, v56, 4, 0
	ds_store_b128 v20, v[57:60]
	ds_store_b128 v21, v[26:29]
	;; [unrolled: 1-line block ×6, first 2 shown]
	v_sub_nc_u32_e32 v88, v20, v0
	global_wb scope:SCOPE_SE
	s_wait_dscnt 0x0
	s_barrier_signal -1
	s_barrier_wait -1
	global_inv scope:SCOPE_SE
	v_add_nc_u32_e32 v98, 0x1400, v88
	v_add_nc_u32_e32 v52, 0x400, v88
	;; [unrolled: 1-line block ×5, first 2 shown]
	ds_load_2addr_b64 v[0:3], v88 offset1:117
	ds_load_2addr_b64 v[4:7], v98 offset0:62 offset1:179
	ds_load_2addr_b64 v[8:11], v52 offset0:106 offset1:223
	;; [unrolled: 1-line block ×5, first 2 shown]
	global_wb scope:SCOPE_SE
	s_wait_dscnt 0x0
	s_barrier_signal -1
	s_barrier_wait -1
	global_inv scope:SCOPE_SE
	ds_store_b128 v20, v[61:64]
	ds_store_b128 v21, v[65:68]
	;; [unrolled: 1-line block ×6, first 2 shown]
	v_lshlrev_b32_e32 v24, 4, v86
	v_lshlrev_b32_e32 v25, 4, v87
	global_wb scope:SCOPE_SE
	s_wait_dscnt 0x0
	s_barrier_signal -1
	s_barrier_wait -1
	global_inv scope:SCOPE_SE
	s_clause 0x3
	global_load_b128 v[20:23], v55, s[4:5]
	global_load_b128 v[30:33], v90, s[4:5]
	;; [unrolled: 1-line block ×4, first 2 shown]
	ds_load_2addr_b64 v[42:45], v98 offset0:62 offset1:179
	ds_load_2addr_b64 v[57:60], v94 offset0:40 offset1:157
	;; [unrolled: 1-line block ×3, first 2 shown]
	v_lshlrev_b32_e32 v51, 1, v50
	v_lshlrev_b32_e32 v53, 1, v56
	;; [unrolled: 1-line block ×4, first 2 shown]
	s_wait_loadcnt_dscnt 0x302
	v_mul_f64_e32 v[24:25], v[42:43], v[22:23]
	v_mul_f64_e32 v[75:76], v[4:5], v[22:23]
	s_wait_loadcnt 0x2
	v_mul_f64_e32 v[46:47], v[44:45], v[32:33]
	v_mul_f64_e32 v[32:33], v[6:7], v[32:33]
	s_wait_dscnt 0x1
	v_mul_f64_e32 v[65:66], v[57:58], v[22:23]
	v_mul_f64_e32 v[77:78], v[12:13], v[22:23]
	s_wait_loadcnt 0x1
	v_mul_f64_e32 v[67:68], v[59:60], v[36:37]
	v_mul_f64_e32 v[36:37], v[14:15], v[36:37]
	s_wait_dscnt 0x0
	v_mul_f64_e32 v[69:70], v[61:62], v[22:23]
	v_mul_f64_e32 v[22:23], v[26:27], v[22:23]
	s_wait_loadcnt 0x0
	v_mul_f64_e32 v[71:72], v[63:64], v[40:41]
	v_mul_f64_e32 v[40:41], v[28:29], v[40:41]
	v_fma_f64 v[24:25], v[4:5], v[20:21], v[24:25]
	v_fma_f64 v[42:43], v[42:43], v[20:21], -v[75:76]
	v_fma_f64 v[46:47], v[6:7], v[30:31], v[46:47]
	v_fma_f64 v[30:31], v[44:45], v[30:31], -v[32:33]
	;; [unrolled: 2-line block ×6, first 2 shown]
	ds_load_2addr_b64 v[4:7], v88 offset1:117
	ds_load_2addr_b64 v[12:15], v52 offset0:106 offset1:223
	ds_load_2addr_b64 v[20:23], v74 offset0:84 offset1:201
	v_and_or_b32 v58, 0xfc, v51, v84
	v_lshlrev_b32_e32 v59, 1, v73
	v_lshlrev_b32_e32 v60, 1, v83
	;; [unrolled: 1-line block ×3, first 2 shown]
	v_and_or_b32 v72, 0x1fc, v53, v85
	v_lshl_add_u32 v71, v58, 3, 0
	v_and_or_b32 v76, 0x7fc, v59, v84
	v_and_or_b32 v77, 0x5fc, v60, v87
	;; [unrolled: 1-line block ×4, first 2 shown]
	v_lshlrev_b32_e32 v70, 5, v112
	v_lshl_add_u32 v72, v72, 3, 0
	v_lshlrev_b32_e32 v78, 5, v113
	v_lshl_add_u32 v73, v73, 3, 0
	v_lshl_add_u32 v75, v75, 3, 0
	v_lshlrev_b32_e32 v83, 5, v115
	v_lshl_add_u32 v76, v76, 3, 0
	v_lshl_add_u32 v77, v77, 3, 0
	global_wb scope:SCOPE_SE
	s_wait_dscnt 0x0
	s_barrier_signal -1
	s_barrier_wait -1
	global_inv scope:SCOPE_SE
	v_add_f64_e64 v[24:25], v[0:1], -v[24:25]
	v_add_f64_e64 v[42:43], v[4:5], -v[42:43]
	;; [unrolled: 1-line block ×12, first 2 shown]
	v_fma_f64 v[0:1], v[0:1], 2.0, -v[24:25]
	v_fma_f64 v[58:59], v[4:5], 2.0, -v[42:43]
	;; [unrolled: 1-line block ×12, first 2 shown]
	ds_store_2addr_b64 v71, v[0:1], v[24:25] offset1:2
	ds_store_2addr_b64 v72, v[2:3], v[40:41] offset1:2
	ds_store_2addr_b64 v73, v[8:9], v[44:45] offset1:2
	ds_store_2addr_b64 v75, v[10:11], v[46:47] offset1:2
	ds_store_2addr_b64 v76, v[16:17], v[26:27] offset1:2
	ds_store_2addr_b64 v77, v[18:19], v[28:29] offset1:2
	global_wb scope:SCOPE_SE
	s_wait_dscnt 0x0
	s_barrier_signal -1
	s_barrier_wait -1
	global_inv scope:SCOPE_SE
	ds_load_2addr_b64 v[0:3], v88 offset1:117
	ds_load_2addr_b64 v[4:7], v74 offset0:84 offset1:201
	ds_load_2addr_b64 v[8:11], v94 offset0:40 offset1:157
	;; [unrolled: 1-line block ×5, first 2 shown]
	global_wb scope:SCOPE_SE
	s_wait_dscnt 0x0
	s_barrier_signal -1
	s_barrier_wait -1
	global_inv scope:SCOPE_SE
	ds_store_2addr_b64 v71, v[58:59], v[42:43] offset1:2
	ds_store_2addr_b64 v72, v[60:61], v[30:31] offset1:2
	;; [unrolled: 1-line block ×6, first 2 shown]
	global_wb scope:SCOPE_SE
	s_wait_dscnt 0x0
	s_barrier_signal -1
	s_barrier_wait -1
	global_inv scope:SCOPE_SE
	s_clause 0x7
	global_load_b128 v[24:27], v70, s[4:5] offset:32
	global_load_b128 v[28:31], v70, s[4:5] offset:48
	;; [unrolled: 1-line block ×8, first 2 shown]
	ds_load_2addr_b64 v[90:93], v74 offset0:84 offset1:201
	ds_load_2addr_b64 v[94:97], v94 offset0:40 offset1:157
	;; [unrolled: 1-line block ×4, first 2 shown]
	s_wait_loadcnt_dscnt 0x703
	v_mul_f64_e32 v[32:33], v[90:91], v[26:27]
	s_wait_loadcnt_dscnt 0x602
	v_mul_f64_e32 v[34:35], v[94:95], v[30:31]
	s_wait_loadcnt 0x5
	v_mul_f64_e32 v[36:37], v[92:93], v[46:47]
	s_wait_loadcnt 0x4
	v_mul_f64_e32 v[38:39], v[96:97], v[64:65]
	s_wait_loadcnt_dscnt 0x301
	v_mul_f64_e32 v[40:41], v[98:99], v[70:71]
	s_wait_loadcnt_dscnt 0x200
	v_mul_f64_e32 v[66:67], v[102:103], v[77:78]
	s_wait_loadcnt 0x1
	v_mul_f64_e32 v[72:73], v[100:101], v[81:82]
	s_wait_loadcnt 0x0
	v_mul_f64_e32 v[106:107], v[104:105], v[85:86]
	v_mul_f64_e32 v[26:27], v[4:5], v[26:27]
	v_mul_f64_e32 v[108:109], v[6:7], v[46:47]
	v_mul_f64_e32 v[30:31], v[8:9], v[30:31]
	v_mul_f64_e32 v[110:111], v[10:11], v[64:65]
	v_mul_f64_e32 v[70:71], v[16:17], v[70:71]
	v_mul_f64_e32 v[81:82], v[18:19], v[81:82]
	v_mul_f64_e32 v[77:78], v[20:21], v[77:78]
	v_mul_f64_e32 v[85:86], v[22:23], v[85:86]
	v_fma_f64 v[58:59], v[4:5], v[24:25], v[32:33]
	v_fma_f64 v[60:61], v[8:9], v[28:29], v[34:35]
	;; [unrolled: 1-line block ×8, first 2 shown]
	v_fma_f64 v[64:65], v[90:91], v[24:25], -v[26:27]
	v_fma_f64 v[66:67], v[92:93], v[44:45], -v[108:109]
	;; [unrolled: 1-line block ×8, first 2 shown]
	v_lshrrev_b32_e32 v91, 2, v54
	v_lshrrev_b32_e32 v90, 2, v89
                                        ; implicit-def: $vgpr84_vgpr85
	v_add_f64_e32 v[16:17], v[0:1], v[58:59]
	v_add_f64_e32 v[4:5], v[58:59], v[60:61]
	;; [unrolled: 1-line block ×8, first 2 shown]
	v_add_f64_e64 v[18:19], v[64:65], -v[34:35]
	v_add_f64_e64 v[28:29], v[66:67], -v[44:45]
	;; [unrolled: 1-line block ×4, first 2 shown]
	v_fma_f64 v[0:1], v[4:5], -0.5, v[0:1]
	v_add_f64_e32 v[4:5], v[16:17], v[60:61]
	v_fma_f64 v[2:3], v[6:7], -0.5, v[2:3]
	v_add_f64_e32 v[22:23], v[20:21], v[42:43]
	;; [unrolled: 2-line block ×4, first 2 shown]
	v_fma_f64 v[6:7], v[18:19], s[2:3], v[0:1]
	s_wait_alu 0xfffe
	v_fma_f64 v[20:21], v[18:19], s[6:7], v[0:1]
	v_fma_f64 v[24:25], v[28:29], s[2:3], v[2:3]
	;; [unrolled: 1-line block ×7, first 2 shown]
	v_lshrrev_b32_e32 v0, 2, v50
	v_lshrrev_b32_e32 v1, 2, v56
	v_mul_u32_u24_e32 v2, 12, v91
	v_mul_u32_u24_e32 v3, 12, v90
	s_delay_alu instid0(VALU_DEP_4) | instskip(NEXT) | instid1(VALU_DEP_4)
	v_mul_u32_u24_e32 v0, 12, v0
	v_mul_u32_u24_e32 v1, 12, v1
	s_delay_alu instid0(VALU_DEP_4) | instskip(NEXT) | instid1(VALU_DEP_4)
	v_or_b32_e32 v77, v2, v114
	v_or_b32_e32 v79, v3, v115
	s_delay_alu instid0(VALU_DEP_4) | instskip(NEXT) | instid1(VALU_DEP_4)
	v_or_b32_e32 v0, v0, v112
	v_or_b32_e32 v76, v1, v113
	s_delay_alu instid0(VALU_DEP_4) | instskip(NEXT) | instid1(VALU_DEP_3)
	v_lshl_add_u32 v77, v77, 3, 0
	v_lshl_add_u32 v75, v0, 3, 0
	ds_load_2addr_b64 v[28:31], v88 offset1:117
	ds_load_2addr_b64 v[0:3], v52 offset0:106 offset1:223
	v_lshl_add_u32 v78, v76, 3, 0
	v_lshl_add_u32 v76, v79, 3, 0
	global_wb scope:SCOPE_SE
	s_wait_dscnt 0x0
	s_barrier_signal -1
	s_barrier_wait -1
	global_inv scope:SCOPE_SE
	ds_store_2addr_b64 v75, v[4:5], v[6:7] offset1:4
	ds_store_b64 v75, v[20:21] offset:64
	ds_store_2addr_b64 v78, v[22:23], v[24:25] offset1:4
	ds_store_b64 v78, v[26:27] offset:64
	;; [unrolled: 2-line block ×4, first 2 shown]
	global_wb scope:SCOPE_SE
	s_wait_dscnt 0x0
	s_barrier_signal -1
	s_barrier_wait -1
	global_inv scope:SCOPE_SE
	s_and_saveexec_b32 s1, s0
	s_cbranch_execz .LBB0_13
; %bb.12:
	v_add_nc_u32_e32 v8, 0x1000, v88
	v_add_nc_u32_e32 v9, 0x1800, v88
	;; [unrolled: 1-line block ×3, first 2 shown]
	ds_load_2addr_b64 v[4:7], v88 offset1:108
	ds_load_2addr_b64 v[20:23], v52 offset0:88 offset1:196
	ds_load_2addr_b64 v[24:27], v74 offset0:48 offset1:156
	ds_load_2addr_b64 v[12:15], v8 offset0:136 offset1:244
	ds_load_2addr_b64 v[8:11], v9 offset0:96 offset1:204
	ds_load_2addr_b64 v[16:19], v16 offset0:56 offset1:164
	ds_load_b64 v[84:85], v88 offset:10368
.LBB0_13:
	s_wait_alu 0xfffe
	s_or_b32 exec_lo, exec_lo, s1
	v_add_f64_e32 v[79:80], v[64:65], v[34:35]
	v_add_f64_e32 v[81:82], v[66:67], v[44:45]
	;; [unrolled: 1-line block ×5, first 2 shown]
	v_add_f64_e64 v[58:59], v[58:59], -v[60:61]
	v_add_f64_e32 v[60:61], v[30:31], v[66:67]
	v_add_f64_e32 v[66:67], v[0:1], v[68:69]
	;; [unrolled: 1-line block ×3, first 2 shown]
	v_add_f64_e64 v[36:37], v[36:37], -v[42:43]
	v_add_f64_e64 v[38:39], v[38:39], -v[46:47]
	global_wb scope:SCOPE_SE
	s_wait_dscnt 0x0
	s_barrier_signal -1
	s_barrier_wait -1
	global_inv scope:SCOPE_SE
	v_fma_f64 v[28:29], v[79:80], -0.5, v[28:29]
	v_fma_f64 v[72:73], v[81:82], -0.5, v[30:31]
	;; [unrolled: 1-line block ×3, first 2 shown]
	v_add_f64_e64 v[81:82], v[32:33], -v[40:41]
	v_fma_f64 v[86:87], v[92:93], -0.5, v[2:3]
	v_add_f64_e32 v[0:1], v[64:65], v[34:35]
	v_add_f64_e32 v[42:43], v[60:61], v[44:45]
	;; [unrolled: 1-line block ×4, first 2 shown]
	v_fma_f64 v[2:3], v[58:59], s[6:7], v[28:29]
	v_fma_f64 v[40:41], v[58:59], s[2:3], v[28:29]
	v_fma_f64 v[44:45], v[36:37], s[6:7], v[72:73]
	v_fma_f64 v[46:47], v[36:37], s[2:3], v[72:73]
	v_fma_f64 v[34:35], v[38:39], s[6:7], v[79:80]
	v_fma_f64 v[28:29], v[38:39], s[2:3], v[79:80]
	v_fma_f64 v[36:37], v[81:82], s[6:7], v[86:87]
	v_fma_f64 v[38:39], v[81:82], s[2:3], v[86:87]
                                        ; implicit-def: $vgpr86_vgpr87
	ds_store_2addr_b64 v75, v[0:1], v[2:3] offset1:4
	ds_store_b64 v75, v[40:41] offset:64
	ds_store_2addr_b64 v78, v[42:43], v[44:45] offset1:4
	ds_store_b64 v78, v[46:47] offset:64
	ds_store_2addr_b64 v77, v[32:33], v[34:35] offset1:4
	ds_store_b64 v77, v[28:29] offset:64
	ds_store_2addr_b64 v76, v[30:31], v[36:37] offset1:4
	ds_store_b64 v76, v[38:39] offset:64
	global_wb scope:SCOPE_SE
	s_wait_dscnt 0x0
	s_barrier_signal -1
	s_barrier_wait -1
	global_inv scope:SCOPE_SE
	s_and_saveexec_b32 s1, s0
	s_cbranch_execz .LBB0_15
; %bb.14:
	v_add_nc_u32_e32 v28, 0x400, v88
	v_add_nc_u32_e32 v29, 0xc00, v88
	;; [unrolled: 1-line block ×5, first 2 shown]
	ds_load_2addr_b64 v[0:3], v88 offset1:108
	ds_load_2addr_b64 v[40:43], v28 offset0:88 offset1:196
	ds_load_2addr_b64 v[44:47], v29 offset0:48 offset1:156
	;; [unrolled: 1-line block ×5, first 2 shown]
	ds_load_b64 v[86:87], v88 offset:10368
.LBB0_15:
	s_wait_alu 0xfffe
	s_or_b32 exec_lo, exec_lo, s1
	v_and_b32_e32 v52, 0xff, v50
	s_delay_alu instid0(VALU_DEP_1) | instskip(NEXT) | instid1(VALU_DEP_1)
	v_mul_lo_u16 v52, 0xab, v52
	v_lshrrev_b16 v52, 11, v52
	s_delay_alu instid0(VALU_DEP_1) | instskip(SKIP_1) | instid1(VALU_DEP_2)
	v_mul_lo_u16 v58, v52, 12
	v_and_b32_e32 v52, 0xffff, v52
	v_sub_nc_u16 v58, v50, v58
	s_delay_alu instid0(VALU_DEP_1) | instskip(NEXT) | instid1(VALU_DEP_1)
	v_and_b32_e32 v142, 0xff, v58
	v_mul_u32_u24_e32 v58, 12, v142
	s_delay_alu instid0(VALU_DEP_1)
	v_lshlrev_b32_e32 v70, 4, v58
	s_clause 0xb
	global_load_b128 v[58:61], v70, s[4:5] offset:176
	global_load_b128 v[62:65], v70, s[4:5] offset:192
	;; [unrolled: 1-line block ×12, first 2 shown]
	global_wb scope:SCOPE_SE
	s_wait_loadcnt_dscnt 0x0
	s_barrier_signal -1
	s_barrier_wait -1
	global_inv scope:SCOPE_SE
	v_mul_f64_e32 v[70:71], v[40:41], v[60:61]
	v_mul_f64_e32 v[60:61], v[20:21], v[60:61]
	;; [unrolled: 1-line block ×24, first 2 shown]
	v_fma_f64 v[74:75], v[20:21], v[58:59], v[70:71]
	v_fma_f64 v[78:79], v[40:41], v[58:59], -v[60:61]
	v_fma_f64 v[70:71], v[22:23], v[62:63], v[76:77]
	v_fma_f64 v[76:77], v[42:43], v[62:63], -v[64:65]
	;; [unrolled: 2-line block ×12, first 2 shown]
	v_lshlrev_b32_e32 v84, 3, v142
	s_and_saveexec_b32 s1, s0
	s_cbranch_execz .LBB0_17
; %bb.16:
	v_add_f64_e32 v[2:3], v[4:5], v[80:81]
	s_delay_alu instid0(VALU_DEP_3)
	v_add_f64_e64 v[8:9], v[82:83], -v[26:27]
	v_add_f64_e64 v[6:7], v[78:79], -v[28:29]
	;; [unrolled: 1-line block ×6, first 2 shown]
	s_mov_b32 s24, 0x66966769
	s_mov_b32 s22, 0x2ef20147
	;; [unrolled: 1-line block ×12, first 2 shown]
	s_wait_alu 0xfffe
	s_mov_b32 s28, s20
	s_mov_b32 s30, s24
	v_add_f64_e32 v[18:19], v[80:81], v[38:39]
	s_mov_b32 s3, 0x3fddbe06
	s_mov_b32 s2, 0x4267c47c
	;; [unrolled: 1-line block ×12, first 2 shown]
	v_add_f64_e32 v[104:105], v[74:75], v[36:37]
	s_mov_b32 s16, 0xe00740e9
	s_mov_b32 s17, 0x3fec55a7
	;; [unrolled: 1-line block ×3, first 2 shown]
	v_add_f64_e32 v[2:3], v[2:3], v[74:75]
	v_mul_f64_e32 v[22:23], s[26:27], v[8:9]
	v_mul_f64_e32 v[85:86], s[18:19], v[8:9]
	;; [unrolled: 1-line block ×5, first 2 shown]
	s_wait_alu 0xfffe
	v_mul_f64_e32 v[20:21], s[2:3], v[6:7]
	v_mul_f64_e32 v[24:25], s[2:3], v[10:11]
	;; [unrolled: 1-line block ×5, first 2 shown]
	s_mov_b32 s3, 0xbfddbe06
	v_mul_f64_e32 v[106:107], s[24:25], v[6:7]
	s_wait_alu 0xfffe
	v_mul_f64_e32 v[8:9], s[2:3], v[8:9]
	s_mov_b32 s2, 0x1ea71119
	s_mov_b32 s3, 0x3fe22d96
	v_mul_f64_e32 v[108:109], s[34:35], v[6:7]
	v_mul_f64_e32 v[110:111], s[26:27], v[6:7]
	;; [unrolled: 1-line block ×4, first 2 shown]
	s_mov_b32 s36, s22
	v_mul_f64_e32 v[126:127], s[18:19], v[12:13]
	v_mul_f64_e32 v[128:129], s[28:29], v[12:13]
	;; [unrolled: 1-line block ×5, first 2 shown]
	s_mov_b32 s37, 0x3fcea1e5
	s_mov_b32 s36, s26
	v_mul_f64_e32 v[148:149], s[30:31], v[14:15]
	s_wait_alu 0xfffe
	v_mul_f64_e32 v[146:147], s[36:37], v[14:15]
	v_mul_f64_e32 v[150:151], s[34:35], v[14:15]
	v_add_f64_e32 v[2:3], v[2:3], v[70:71]
	v_fma_f64 v[114:115], v[18:19], s[12:13], -v[22:23]
	v_fma_f64 v[22:23], v[18:19], s[12:13], v[22:23]
	v_fma_f64 v[116:117], v[18:19], s[14:15], -v[85:86]
	v_fma_f64 v[85:86], v[18:19], s[14:15], v[85:86]
	;; [unrolled: 2-line block ×3, first 2 shown]
	v_fma_f64 v[122:123], v[18:19], s[2:3], v[100:101]
	v_fma_f64 v[94:95], v[18:19], s[6:7], v[94:95]
	v_fma_f64 v[98:99], v[18:19], s[10:11], -v[98:99]
	v_fma_f64 v[100:101], v[18:19], s[2:3], -v[100:101]
	;; [unrolled: 1-line block ×3, first 2 shown]
	v_fma_f64 v[20:21], v[104:105], s[16:17], v[20:21]
	v_fma_f64 v[124:125], v[18:19], s[16:17], v[8:9]
	v_fma_f64 v[8:9], v[18:19], s[16:17], -v[8:9]
	v_add_f64_e32 v[18:19], v[70:71], v[72:73]
	v_fma_f64 v[136:137], v[104:105], s[10:11], -v[106:107]
	v_fma_f64 v[106:107], v[104:105], s[10:11], v[106:107]
	v_fma_f64 v[138:139], v[104:105], s[14:15], -v[108:109]
	v_fma_f64 v[108:109], v[104:105], s[14:15], v[108:109]
	;; [unrolled: 2-line block ×5, first 2 shown]
	v_add_f64_e32 v[2:3], v[2:3], v[64:65]
	v_add_f64_e32 v[104:105], v[4:5], v[114:115]
	;; [unrolled: 1-line block ×14, first 2 shown]
	v_mul_f64_e32 v[124:125], s[20:21], v[14:15]
	v_mul_f64_e32 v[14:15], s[22:23], v[14:15]
	v_fma_f64 v[152:153], v[18:19], s[14:15], -v[126:127]
	v_fma_f64 v[126:127], v[18:19], s[14:15], v[126:127]
	v_fma_f64 v[154:155], v[18:19], s[2:3], -v[128:129]
	v_fma_f64 v[128:129], v[18:19], s[2:3], v[128:129]
	;; [unrolled: 2-line block ×6, first 2 shown]
	v_add_f64_e32 v[2:3], v[2:3], v[58:59]
	v_add_f64_e32 v[18:19], v[134:135], v[104:105]
	;; [unrolled: 1-line block ×12, first 2 shown]
	v_mul_f64_e32 v[112:113], s[22:23], v[10:11]
	v_add_f64_e32 v[6:7], v[6:7], v[122:123]
	v_add_f64_e32 v[4:5], v[144:145], v[4:5]
	v_mul_f64_e32 v[114:115], s[36:37], v[10:11]
	v_mul_f64_e32 v[116:117], s[28:29], v[10:11]
	;; [unrolled: 1-line block ×3, first 2 shown]
	v_fma_f64 v[120:121], v[8:9], s[2:3], -v[124:125]
	v_fma_f64 v[122:123], v[8:9], s[2:3], v[124:125]
	v_fma_f64 v[124:125], v[8:9], s[12:13], -v[146:147]
	v_fma_f64 v[134:135], v[8:9], s[12:13], v[146:147]
	v_fma_f64 v[136:137], v[8:9], s[10:11], -v[148:149]
	v_fma_f64 v[138:139], v[8:9], s[10:11], v[148:149]
	v_fma_f64 v[140:141], v[8:9], s[16:17], -v[96:97]
	v_fma_f64 v[96:97], v[8:9], s[16:17], v[96:97]
	v_fma_f64 v[142:143], v[8:9], s[14:15], -v[150:151]
	v_fma_f64 v[144:145], v[8:9], s[14:15], v[150:151]
	v_fma_f64 v[146:147], v[8:9], s[6:7], -v[14:15]
	v_fma_f64 v[8:9], v[8:9], s[6:7], v[14:15]
	v_mul_f64_e32 v[10:11], s[18:19], v[10:11]
	v_add_f64_e32 v[2:3], v[2:3], v[40:41]
	v_add_f64_e32 v[14:15], v[152:153], v[18:19]
	;; [unrolled: 1-line block ×11, first 2 shown]
	v_mul_f64_e32 v[100:101], s[24:25], v[16:17]
	v_mul_f64_e32 v[110:111], s[22:23], v[16:17]
	v_add_f64_e32 v[6:7], v[12:13], v[6:7]
	v_add_f64_e32 v[4:5], v[162:163], v[4:5]
	;; [unrolled: 1-line block ×3, first 2 shown]
	v_mul_f64_e32 v[126:127], s[20:21], v[16:17]
	v_mul_f64_e32 v[128:129], s[18:19], v[16:17]
	;; [unrolled: 1-line block ×3, first 2 shown]
	v_fma_f64 v[130:131], v[108:109], s[6:7], -v[112:113]
	v_fma_f64 v[112:113], v[108:109], s[6:7], v[112:113]
	v_fma_f64 v[132:133], v[108:109], s[16:17], -v[24:25]
	v_fma_f64 v[24:25], v[108:109], s[16:17], v[24:25]
	v_fma_f64 v[148:149], v[108:109], s[12:13], -v[114:115]
	v_fma_f64 v[150:151], v[108:109], s[2:3], -v[116:117]
	v_fma_f64 v[116:117], v[108:109], s[2:3], v[116:117]
	v_fma_f64 v[152:153], v[108:109], s[10:11], -v[118:119]
	v_fma_f64 v[118:119], v[108:109], s[10:11], v[118:119]
	v_fma_f64 v[114:115], v[108:109], s[12:13], v[114:115]
	v_fma_f64 v[154:155], v[108:109], s[14:15], -v[10:11]
	v_fma_f64 v[10:11], v[108:109], s[14:15], v[10:11]
	v_add_f64_e32 v[2:3], v[2:3], v[32:33]
	v_add_f64_e32 v[14:15], v[120:121], v[14:15]
	;; [unrolled: 1-line block ×13, first 2 shown]
	v_fma_f64 v[8:9], v[12:13], s[10:11], -v[100:101]
	v_fma_f64 v[100:101], v[12:13], s[10:11], v[100:101]
	v_fma_f64 v[106:107], v[12:13], s[6:7], -v[110:111]
	v_fma_f64 v[108:109], v[12:13], s[6:7], v[110:111]
	;; [unrolled: 2-line block ×6, first 2 shown]
	v_add_f64_e32 v[2:3], v[2:3], v[46:47]
	v_add_f64_e32 v[14:15], v[130:131], v[14:15]
	;; [unrolled: 1-line block ×26, first 2 shown]
	v_mul_u32_u24_e32 v12, 0x4e0, v52
	s_delay_alu instid0(VALU_DEP_1) | instskip(SKIP_1) | instid1(VALU_DEP_1)
	v_add3_u32 v12, 0, v12, v84
	v_add_f64_e32 v[2:3], v[2:3], v[72:73]
	v_add_f64_e32 v[2:3], v[2:3], v[36:37]
	s_delay_alu instid0(VALU_DEP_1)
	v_add_f64_e32 v[2:3], v[2:3], v[38:39]
	ds_store_2addr_b64 v12, v[22:23], v[20:21] offset0:24 offset1:36
	ds_store_2addr_b64 v12, v[24:25], v[16:17] offset0:48 offset1:60
	;; [unrolled: 1-line block ×5, first 2 shown]
	ds_store_2addr_b64 v12, v[2:3], v[6:7] offset1:12
	ds_store_b64 v12, v[4:5] offset:1152
.LBB0_17:
	s_wait_alu 0xfffe
	s_or_b32 exec_lo, exec_lo, s1
	v_add_nc_u32_e32 v85, 0xc00, v88
	v_add_nc_u32_e32 v86, 0x1c00, v88
	;; [unrolled: 1-line block ×5, first 2 shown]
	global_wb scope:SCOPE_SE
	s_wait_dscnt 0x0
	s_barrier_signal -1
	s_barrier_wait -1
	global_inv scope:SCOPE_SE
	ds_load_2addr_b64 v[2:5], v88 offset1:117
	ds_load_2addr_b64 v[18:21], v85 offset0:84 offset1:201
	ds_load_2addr_b64 v[22:25], v86 offset0:40 offset1:157
	;; [unrolled: 1-line block ×5, first 2 shown]
	global_wb scope:SCOPE_SE
	s_wait_dscnt 0x0
	s_barrier_signal -1
	s_barrier_wait -1
	global_inv scope:SCOPE_SE
	s_and_saveexec_b32 s33, s0
	s_cbranch_execz .LBB0_19
; %bb.18:
	v_add_f64_e32 v[94:95], v[0:1], v[82:83]
	v_add_f64_e32 v[82:83], v[82:83], v[26:27]
	s_mov_b32 s0, 0xe00740e9
	s_mov_b32 s28, 0x1ea71119
	;; [unrolled: 1-line block ×11, first 2 shown]
	v_add_f64_e64 v[38:39], v[80:81], -v[38:39]
	s_mov_b32 s41, 0xbfef11f4
	s_mov_b32 s2, 0x4267c47c
	;; [unrolled: 1-line block ×10, first 2 shown]
	s_wait_alu 0xfffe
	s_mov_b32 s16, s12
	s_mov_b32 s19, 0x3fedeba7
	;; [unrolled: 1-line block ×8, first 2 shown]
	v_add_f64_e64 v[36:37], v[74:75], -v[36:37]
	s_wait_alu 0xfffe
	s_mov_b32 s38, s36
	s_mov_b32 s35, 0xbfe5384d
	;; [unrolled: 1-line block ×5, first 2 shown]
	v_add_f64_e32 v[94:95], v[94:95], v[78:79]
	v_add_f64_e32 v[78:79], v[78:79], v[28:29]
	v_mul_f64_e32 v[80:81], s[0:1], v[82:83]
	v_mul_f64_e32 v[96:97], s[28:29], v[82:83]
	;; [unrolled: 1-line block ×6, first 2 shown]
	s_mov_b32 s7, 0xbfddbe06
	s_mov_b32 s6, s2
	v_add_f64_e64 v[70:71], v[70:71], -v[72:73]
	v_add_f64_e64 v[46:47], v[58:59], -v[46:47]
	;; [unrolled: 1-line block ×3, first 2 shown]
	v_add_f64_e32 v[94:95], v[94:95], v[76:77]
	v_add_f64_e32 v[76:77], v[76:77], v[30:31]
	v_mul_f64_e32 v[74:75], s[28:29], v[78:79]
	v_mul_f64_e32 v[104:105], s[26:27], v[78:79]
	;; [unrolled: 1-line block ×6, first 2 shown]
	v_fma_f64 v[112:113], v[38:39], s[2:3], v[80:81]
	v_fma_f64 v[114:115], v[38:39], s[12:13], v[96:97]
	;; [unrolled: 1-line block ×9, first 2 shown]
	s_wait_alu 0xfffe
	v_fma_f64 v[102:103], v[38:39], s[34:35], v[102:103]
	v_fma_f64 v[98:99], v[38:39], s[14:15], v[98:99]
	v_fma_f64 v[38:39], v[38:39], s[6:7], v[80:81]
	v_add_f64_e32 v[94:95], v[94:95], v[68:69]
	v_add_f64_e32 v[68:69], v[68:69], v[34:35]
	v_mul_f64_e32 v[72:73], s[24:25], v[76:77]
	v_mul_f64_e32 v[80:81], s[40:41], v[76:77]
	;; [unrolled: 1-line block ×6, first 2 shown]
	v_fma_f64 v[130:131], v[36:37], s[12:13], v[74:75]
	v_fma_f64 v[74:75], v[36:37], s[16:17], v[74:75]
	;; [unrolled: 1-line block ×12, first 2 shown]
	v_add_f64_e32 v[78:79], v[0:1], v[112:113]
	v_add_f64_e32 v[112:113], v[0:1], v[114:115]
	;; [unrolled: 1-line block ×12, first 2 shown]
	v_add_f64_e64 v[38:39], v[64:65], -v[66:67]
	v_add_f64_e32 v[94:95], v[94:95], v[62:63]
	v_add_f64_e32 v[62:63], v[62:63], v[60:61]
	v_mul_f64_e32 v[64:65], s[26:27], v[68:69]
	v_mul_f64_e32 v[66:67], s[30:31], v[68:69]
	;; [unrolled: 1-line block ×6, first 2 shown]
	v_fma_f64 v[146:147], v[70:71], s[10:11], v[72:73]
	v_fma_f64 v[72:73], v[70:71], s[14:15], v[72:73]
	;; [unrolled: 1-line block ×12, first 2 shown]
	v_add_f64_e32 v[76:77], v[130:131], v[78:79]
	v_add_f64_e32 v[78:79], v[132:133], v[112:113]
	;; [unrolled: 1-line block ×14, first 2 shown]
	v_mul_f64_e32 v[58:59], s[24:25], v[62:63]
	v_mul_f64_e32 v[74:75], s[28:29], v[62:63]
	;; [unrolled: 1-line block ×3, first 2 shown]
	v_fma_f64 v[106:107], v[38:39], s[18:19], v[64:65]
	v_fma_f64 v[64:65], v[38:39], s[20:21], v[64:65]
	;; [unrolled: 1-line block ×12, first 2 shown]
	v_add_f64_e32 v[68:69], v[146:147], v[76:77]
	v_add_f64_e32 v[76:77], v[148:149], v[78:79]
	;; [unrolled: 1-line block ×13, first 2 shown]
	v_mul_f64_e32 v[44:45], s[30:31], v[62:63]
	v_mul_f64_e32 v[40:41], s[40:41], v[42:43]
	;; [unrolled: 1-line block ×5, first 2 shown]
	v_fma_f64 v[124:125], v[46:47], s[14:15], v[58:59]
	v_fma_f64 v[58:59], v[46:47], s[10:11], v[58:59]
	;; [unrolled: 1-line block ×6, first 2 shown]
	v_add_f64_e32 v[66:67], v[66:67], v[78:79]
	v_add_f64_e32 v[78:79], v[120:121], v[96:97]
	;; [unrolled: 1-line block ×8, first 2 shown]
	v_mul_f64_e32 v[94:95], s[40:41], v[62:63]
	v_mul_f64_e32 v[62:63], s[26:27], v[62:63]
	v_fma_f64 v[114:115], v[46:47], s[22:23], v[44:45]
	v_fma_f64 v[44:45], v[46:47], s[34:35], v[44:45]
	v_fma_f64 v[82:83], v[32:33], s[22:23], v[72:73]
	v_fma_f64 v[72:73], v[32:33], s[34:35], v[72:73]
	v_fma_f64 v[104:105], v[32:33], s[16:17], v[98:99]
	v_fma_f64 v[98:99], v[32:33], s[12:13], v[98:99]
	v_add_f64_e32 v[58:59], v[58:59], v[66:67]
	v_add_f64_e32 v[38:39], v[102:103], v[38:39]
	;; [unrolled: 1-line block ×3, first 2 shown]
	v_mul_f64_e32 v[60:61], s[0:1], v[42:43]
	v_mul_f64_e32 v[42:43], s[24:25], v[42:43]
	v_fma_f64 v[128:129], v[46:47], s[38:39], v[94:95]
	v_fma_f64 v[94:95], v[46:47], s[36:37], v[94:95]
	;; [unrolled: 1-line block ×4, first 2 shown]
	v_add_f64_e32 v[62:63], v[106:107], v[68:69]
	v_add_f64_e32 v[68:69], v[110:111], v[76:77]
	;; [unrolled: 1-line block ×5, first 2 shown]
	v_fma_f64 v[106:107], v[32:33], s[18:19], v[112:113]
	v_fma_f64 v[108:109], v[32:33], s[20:21], v[112:113]
	v_add_f64_e32 v[0:1], v[44:45], v[0:1]
	v_add_f64_e32 v[30:31], v[34:35], v[30:31]
	v_fma_f64 v[34:35], v[32:33], s[36:37], v[40:41]
	v_fma_f64 v[40:41], v[32:33], s[38:39], v[40:41]
	;; [unrolled: 1-line block ×6, first 2 shown]
	v_add_f64_e32 v[42:43], v[114:115], v[62:63]
	v_add_f64_e32 v[62:63], v[124:125], v[68:69]
	v_add_f64_e32 v[66:67], v[126:127], v[76:77]
	v_add_f64_e32 v[68:69], v[128:129], v[78:79]
	v_add_f64_e32 v[78:79], v[136:137], v[96:97]
	v_add_f64_e32 v[76:77], v[94:95], v[80:81]
	v_add_f64_e32 v[80:81], v[138:139], v[100:101]
	v_add_f64_e32 v[36:37], v[46:47], v[36:37]
	v_add_f64_e32 v[46:47], v[74:75], v[70:71]
	v_add_f64_e32 v[28:29], v[30:31], v[28:29]
	v_add_f64_e32 v[0:1], v[40:41], v[0:1]
	v_add_f64_e32 v[30:31], v[34:35], v[42:43]
	v_add_f64_e32 v[34:35], v[64:65], v[62:63]
	v_add_f64_e32 v[44:45], v[82:83], v[66:67]
	v_add_f64_e32 v[42:43], v[60:61], v[58:59]
	v_add_f64_e32 v[58:59], v[104:105], v[68:69]
	v_add_f64_e32 v[62:63], v[106:107], v[78:79]
	v_add_f64_e32 v[64:65], v[110:111], v[80:81]
	v_add_f64_e32 v[32:33], v[32:33], v[36:37]
	v_add_f64_e32 v[60:61], v[98:99], v[76:77]
	v_add_f64_e32 v[36:37], v[108:109], v[38:39]
	v_add_f64_e32 v[38:39], v[72:73], v[46:47]
	v_add_f64_e32 v[26:27], v[28:29], v[26:27]
	v_mul_u32_u24_e32 v28, 0x4e0, v52
	s_delay_alu instid0(VALU_DEP_1)
	v_add3_u32 v28, 0, v28, v84
	ds_store_2addr_b64 v28, v[34:35], v[44:45] offset0:24 offset1:36
	ds_store_2addr_b64 v28, v[58:59], v[62:63] offset0:48 offset1:60
	;; [unrolled: 1-line block ×5, first 2 shown]
	ds_store_2addr_b64 v28, v[26:27], v[30:31] offset1:12
	ds_store_b64 v28, v[0:1] offset:1152
.LBB0_19:
	s_or_b32 exec_lo, exec_lo, s33
	v_lshrrev_b16 v0, 2, v54
	v_lshrrev_b16 v1, 2, v89
	v_subrev_nc_u32_e32 v26, 39, v50
	v_cmp_gt_u32_e64 s0, 39, v50
	global_wb scope:SCOPE_SE
	s_wait_dscnt 0x0
	v_and_b32_e32 v0, 0xffff, v0
	v_dual_mov_b32 v52, 0 :: v_dual_and_b32 v1, 0xffff, v1
	s_wait_alu 0xf1ff
	v_cndmask_b32_e64 v56, v26, v56, s0
	s_barrier_signal -1
	v_mul_u32_u24_e32 v0, 0xd21, v0
	v_mul_u32_u24_e32 v1, 0xd21, v1
	s_barrier_wait -1
	global_inv scope:SCOPE_SE
	s_mov_b32 s2, 0xe8584caa
	v_lshrrev_b32_e32 v84, 17, v0
	v_lshrrev_b32_e32 v26, 17, v1
	v_lshlrev_b64_e32 v[0:1], 4, v[51:52]
	v_lshlrev_b32_e32 v51, 1, v56
	s_mov_b32 s3, 0xbfebb67a
	v_mul_lo_u16 v27, 0x9c, v84
	v_mul_lo_u16 v26, 0x9c, v26
	s_mov_b32 s7, 0x3febb67a
	v_lshlrev_b64_e32 v[28:29], 4, v[51:52]
	s_wait_alu 0xfffe
	s_mov_b32 s6, s2
	v_sub_nc_u16 v30, v54, v27
	v_sub_nc_u16 v31, v89, v26
	v_add_co_u32 v26, s0, s4, v0
	s_wait_alu 0xf1ff
	v_add_co_ci_u32_e64 v27, s0, s5, v1, s0
	v_and_b32_e32 v51, 0xffff, v30
	v_add_co_u32 v0, s0, s4, v28
	v_and_b32_e32 v54, 0xffff, v31
	s_wait_alu 0xf1ff
	v_add_co_ci_u32_e64 v1, s0, s5, v29, s0
	s_clause 0x1
	global_load_b128 v[28:31], v[26:27], off offset:2480
	global_load_b128 v[32:35], v[26:27], off offset:2464
	v_lshlrev_b32_e32 v58, 5, v51
	v_lshlrev_b32_e32 v66, 5, v54
	s_clause 0x5
	global_load_b128 v[36:39], v[0:1], off offset:2464
	global_load_b128 v[40:43], v[0:1], off offset:2480
	global_load_b128 v[44:47], v58, s[4:5] offset:2464
	global_load_b128 v[58:61], v58, s[4:5] offset:2480
	;; [unrolled: 1-line block ×4, first 2 shown]
	ds_load_2addr_b64 v[70:73], v85 offset0:84 offset1:201
	ds_load_2addr_b64 v[74:77], v86 offset0:40 offset1:157
	;; [unrolled: 1-line block ×4, first 2 shown]
	v_cmp_lt_u32_e64 s0, 38, v50
	v_lshlrev_b32_e32 v56, 3, v56
	v_lshlrev_b32_e32 v51, 3, v51
	v_lshl_add_u32 v54, v54, 3, 0
	s_wait_loadcnt_dscnt 0x702
	v_mul_f64_e32 v[82:83], v[74:75], v[30:31]
	s_wait_loadcnt 0x6
	v_mul_f64_e32 v[0:1], v[70:71], v[34:35]
	s_wait_loadcnt 0x5
	;; [unrolled: 2-line block ×3, first 2 shown]
	v_mul_f64_e32 v[100:101], v[76:77], v[42:43]
	s_wait_loadcnt_dscnt 0x301
	v_mul_f64_e32 v[102:103], v[78:79], v[46:47]
	s_wait_loadcnt_dscnt 0x200
	v_mul_f64_e32 v[104:105], v[94:95], v[60:61]
	s_wait_loadcnt 0x1
	v_mul_f64_e32 v[106:107], v[80:81], v[64:65]
	s_wait_loadcnt 0x0
	v_mul_f64_e32 v[108:109], v[96:97], v[68:69]
	v_mul_f64_e32 v[34:35], v[18:19], v[34:35]
	v_mul_f64_e32 v[30:31], v[22:23], v[30:31]
	v_mul_f64_e32 v[38:39], v[20:21], v[38:39]
	v_mul_f64_e32 v[42:43], v[24:25], v[42:43]
	v_mul_f64_e32 v[46:47], v[10:11], v[46:47]
	v_mul_f64_e32 v[60:61], v[14:15], v[60:61]
	v_mul_f64_e32 v[64:65], v[12:13], v[64:65]
	v_mul_f64_e32 v[68:69], v[16:17], v[68:69]
	v_fma_f64 v[0:1], v[18:19], v[32:33], v[0:1]
	v_fma_f64 v[18:19], v[22:23], v[28:29], v[82:83]
	;; [unrolled: 1-line block ×8, first 2 shown]
	v_fma_f64 v[32:33], v[70:71], v[32:33], -v[34:35]
	v_fma_f64 v[28:29], v[74:75], v[28:29], -v[30:31]
	;; [unrolled: 1-line block ×8, first 2 shown]
	ds_load_2addr_b64 v[10:13], v88 offset1:117
	ds_load_2addr_b64 v[14:17], v87 offset0:106 offset1:223
	global_wb scope:SCOPE_SE
	s_wait_dscnt 0x0
	s_barrier_signal -1
	s_barrier_wait -1
	global_inv scope:SCOPE_SE
	v_add_f64_e32 v[70:71], v[2:3], v[0:1]
	v_add_f64_e32 v[44:45], v[0:1], v[18:19]
	;; [unrolled: 1-line block ×8, first 2 shown]
	v_add_f64_e64 v[0:1], v[0:1], -v[18:19]
	v_add_f64_e32 v[62:63], v[32:33], v[28:29]
	v_add_f64_e64 v[72:73], v[32:33], -v[28:29]
	v_add_f64_e32 v[64:65], v[30:31], v[34:35]
	v_add_f64_e32 v[32:33], v[10:11], v[32:33]
	v_add_f64_e32 v[66:67], v[36:37], v[38:39]
	v_add_f64_e64 v[20:21], v[20:21], -v[22:23]
	v_add_f64_e32 v[68:69], v[40:41], v[42:43]
	v_add_f64_e64 v[24:25], v[24:25], -v[82:83]
	v_add_f64_e32 v[18:19], v[70:71], v[18:19]
	v_fma_f64 v[2:3], v[44:45], -0.5, v[2:3]
	v_add_f64_e64 v[44:45], v[30:31], -v[34:35]
	v_fma_f64 v[4:5], v[46:47], -0.5, v[4:5]
	v_add_f64_e64 v[46:47], v[36:37], -v[38:39]
	;; [unrolled: 2-line block ×3, first 2 shown]
	v_fma_f64 v[8:9], v[60:61], -0.5, v[8:9]
	v_add_f64_e32 v[36:37], v[14:15], v[36:37]
	v_fma_f64 v[10:11], v[62:63], -0.5, v[10:11]
	v_add_f64_e32 v[30:31], v[12:13], v[30:31]
	v_add_f64_e32 v[40:41], v[16:17], v[40:41]
	v_fma_f64 v[12:13], v[64:65], -0.5, v[12:13]
	v_fma_f64 v[14:15], v[66:67], -0.5, v[14:15]
	v_add_f64_e64 v[60:61], v[98:99], -v[100:101]
	v_fma_f64 v[16:17], v[68:69], -0.5, v[16:17]
	v_add_f64_e32 v[22:23], v[74:75], v[22:23]
	v_add_f64_e32 v[62:63], v[76:77], v[82:83]
	;; [unrolled: 1-line block ×4, first 2 shown]
	v_fma_f64 v[66:67], v[72:73], s[2:3], v[2:3]
	s_wait_alu 0xfffe
	v_fma_f64 v[2:3], v[72:73], s[6:7], v[2:3]
	v_fma_f64 v[68:69], v[44:45], s[2:3], v[4:5]
	;; [unrolled: 1-line block ×7, first 2 shown]
	s_wait_alu 0xf1ff
	v_cndmask_b32_e64 v58, 0, 0xea0, s0
	v_add_f64_e32 v[32:33], v[36:37], v[38:39]
	v_fma_f64 v[36:37], v[0:1], s[6:7], v[10:11]
	v_fma_f64 v[38:39], v[0:1], s[2:3], v[10:11]
	v_add_f64_e32 v[30:31], v[30:31], v[34:35]
	v_add_f64_e32 v[34:35], v[40:41], v[42:43]
	v_fma_f64 v[40:41], v[20:21], s[6:7], v[12:13]
	v_fma_f64 v[42:43], v[20:21], s[2:3], v[12:13]
	v_add3_u32 v56, 0, v58, v56
	v_fma_f64 v[58:59], v[24:25], s[6:7], v[14:15]
	v_fma_f64 v[24:25], v[24:25], s[2:3], v[14:15]
	;; [unrolled: 1-line block ×4, first 2 shown]
	v_mul_u32_u24_e32 v72, 0xea0, v84
	s_delay_alu instid0(VALU_DEP_1)
	v_add3_u32 v51, 0, v72, v51
	v_add_nc_u32_e32 v72, 0x1c00, v54
	ds_store_2addr_b64 v88, v[18:19], v[66:67] offset1:156
	ds_store_b64 v88, v[2:3] offset:2496
	ds_store_2addr_b64 v56, v[22:23], v[68:69] offset1:156
	ds_store_b64 v56, v[4:5] offset:2496
	ds_store_2addr_b64 v51, v[62:63], v[44:45] offset1:156
	ds_store_b64 v51, v[6:7] offset:2496
	ds_store_2addr_b64 v72, v[64:65], v[46:47] offset0:40 offset1:196
	ds_store_b64 v54, v[8:9] offset:9984
	global_wb scope:SCOPE_SE
	s_wait_dscnt 0x0
	s_barrier_signal -1
	s_barrier_wait -1
	global_inv scope:SCOPE_SE
	ds_load_2addr_b64 v[4:7], v88 offset1:117
	ds_load_2addr_b64 v[16:19], v85 offset0:84 offset1:201
	ds_load_2addr_b64 v[20:23], v86 offset0:40 offset1:157
	;; [unrolled: 1-line block ×5, first 2 shown]
	global_wb scope:SCOPE_SE
	s_wait_dscnt 0x0
	s_barrier_signal -1
	s_barrier_wait -1
	global_inv scope:SCOPE_SE
	ds_store_2addr_b64 v88, v[28:29], v[36:37] offset1:156
	ds_store_b64 v88, v[38:39] offset:2496
	ds_store_2addr_b64 v56, v[30:31], v[40:41] offset1:156
	ds_store_b64 v56, v[42:43] offset:2496
	;; [unrolled: 2-line block ×3, first 2 shown]
	ds_store_2addr_b64 v72, v[34:35], v[70:71] offset0:40 offset1:196
	ds_store_b64 v54, v[60:61] offset:9984
	global_wb scope:SCOPE_SE
	s_wait_dscnt 0x0
	s_barrier_signal -1
	s_barrier_wait -1
	global_inv scope:SCOPE_SE
	s_and_saveexec_b32 s0, vcc_lo
	s_cbranch_execz .LBB0_21
; %bb.20:
	v_dual_mov_b32 v58, v52 :: v_dual_add_nc_u32 v51, 0xc00, v88
	v_dual_mov_b32 v56, v52 :: v_dual_add_nc_u32 v65, 0x1c00, v88
	v_mov_b32_e32 v54, v52
	s_delay_alu instid0(VALU_DEP_3) | instskip(SKIP_1) | instid1(VALU_DEP_4)
	v_lshlrev_b64_e32 v[24:25], 4, v[57:58]
	v_add_nc_u32_e32 v73, 0x2400, v88
	v_lshlrev_b64_e32 v[28:29], 4, v[55:56]
	v_mul_hi_u32 v89, 0x46046047, v91
	v_lshlrev_b64_e32 v[32:33], 4, v[53:54]
	v_mul_hi_u32 v90, 0x46046047, v90
	v_add_co_u32 v36, vcc_lo, s4, v24
	s_wait_alu 0xfffd
	v_add_co_ci_u32_e32 v37, vcc_lo, s5, v25, vcc_lo
	v_add_co_u32 v44, vcc_lo, s4, v28
	s_wait_alu 0xfffd
	v_add_co_ci_u32_e32 v45, vcc_lo, s5, v29, vcc_lo
	v_add_co_u32 v57, vcc_lo, s4, v32
	s_clause 0x1
	global_load_b128 v[28:31], v[26:27], off offset:7472
	global_load_b128 v[24:27], v[26:27], off offset:7456
	s_wait_alu 0xfffd
	v_add_co_ci_u32_e32 v58, vcc_lo, s5, v33, vcc_lo
	s_clause 0x5
	global_load_b128 v[32:35], v[36:37], off offset:7456
	global_load_b128 v[36:39], v[36:37], off offset:7472
	;; [unrolled: 1-line block ×6, first 2 shown]
	ds_load_2addr_b64 v[61:64], v51 offset0:84 offset1:201
	ds_load_2addr_b64 v[65:68], v65 offset0:40 offset1:157
	v_add_nc_u32_e32 v51, 0x1400, v88
	ds_load_2addr_b64 v[69:72], v51 offset0:62 offset1:179
	ds_load_2addr_b64 v[73:76], v73 offset0:18 offset1:135
	v_mov_b32_e32 v51, v52
	s_wait_loadcnt 0x5
	v_mul_f64_e32 v[81:82], v[10:11], v[34:35]
	v_mul_f64_e32 v[79:80], v[20:21], v[30:31]
	;; [unrolled: 1-line block ×3, first 2 shown]
	s_wait_dscnt 0x3
	v_mul_f64_e32 v[26:27], v[61:62], v[26:27]
	s_wait_dscnt 0x2
	v_mul_f64_e32 v[30:31], v[65:66], v[30:31]
	s_wait_loadcnt 0x1
	v_mul_f64_e32 v[94:95], v[18:19], v[55:56]
	s_wait_loadcnt 0x0
	v_mul_f64_e32 v[96:97], v[22:23], v[59:60]
	v_mul_f64_e32 v[55:56], v[63:64], v[55:56]
	;; [unrolled: 1-line block ×6, first 2 shown]
	s_wait_dscnt 0x1
	v_mul_f64_e32 v[42:43], v[69:70], v[42:43]
	s_wait_dscnt 0x0
	v_mul_f64_e32 v[46:47], v[73:74], v[46:47]
	v_mul_f64_e32 v[34:35], v[71:72], v[34:35]
	;; [unrolled: 1-line block ×3, first 2 shown]
	v_fma_f64 v[65:66], v[65:66], v[28:29], -v[79:80]
	v_fma_f64 v[61:62], v[61:62], v[24:25], -v[77:78]
	v_fma_f64 v[16:17], v[16:17], v[24:25], v[26:27]
	v_fma_f64 v[20:21], v[20:21], v[28:29], v[30:31]
	v_fma_f64 v[63:64], v[63:64], v[53:54], -v[94:95]
	v_fma_f64 v[67:68], v[67:68], v[57:58], -v[96:97]
	v_fma_f64 v[18:19], v[18:19], v[53:54], v[55:56]
	v_fma_f64 v[22:23], v[22:23], v[57:58], v[59:60]
	v_fma_f64 v[24:25], v[71:72], v[32:33], -v[81:82]
	v_fma_f64 v[26:27], v[75:76], v[36:37], -v[83:84]
	;; [unrolled: 1-line block ×4, first 2 shown]
	v_fma_f64 v[40:41], v[8:9], v[40:41], v[42:43]
	v_fma_f64 v[42:43], v[12:13], v[44:45], v[46:47]
	;; [unrolled: 1-line block ×4, first 2 shown]
	ds_load_2addr_b64 v[8:11], v88 offset1:117
	v_add_nc_u32_e32 v12, 0x400, v88
	ds_load_2addr_b64 v[12:15], v12 offset0:106 offset1:223
	v_add_f64_e32 v[36:37], v[61:62], v[65:66]
	s_wait_dscnt 0x1
	v_add_f64_e32 v[71:72], v[8:9], v[61:62]
	v_add_f64_e32 v[38:39], v[16:17], v[20:21]
	v_add_f64_e64 v[69:70], v[16:17], -v[20:21]
	v_add_f64_e32 v[53:54], v[63:64], v[67:68]
	v_add_f64_e32 v[16:17], v[4:5], v[16:17]
	;; [unrolled: 1-line block ×7, first 2 shown]
	v_add_f64_e64 v[61:62], v[61:62], -v[65:66]
	v_add_f64_e32 v[57:58], v[40:41], v[42:43]
	v_add_f64_e32 v[79:80], v[0:1], v[40:41]
	;; [unrolled: 1-line block ×3, first 2 shown]
	v_add_f64_e64 v[85:86], v[40:41], -v[42:43]
	v_add_f64_e64 v[40:41], v[18:19], -v[22:23]
	;; [unrolled: 1-line block ×3, first 2 shown]
	s_wait_dscnt 0x0
	v_add_f64_e32 v[77:78], v[12:13], v[28:29]
	v_add_f64_e64 v[73:74], v[32:33], -v[34:35]
	v_add_f64_e32 v[75:76], v[14:15], v[24:25]
	v_add_f64_e32 v[32:33], v[2:3], v[32:33]
	v_add_f64_e64 v[28:29], v[28:29], -v[30:31]
	v_add_f64_e64 v[87:88], v[24:25], -v[26:27]
	v_fma_f64 v[36:37], v[36:37], -0.5, v[8:9]
	v_fma_f64 v[38:39], v[38:39], -0.5, v[4:5]
	;; [unrolled: 1-line block ×5, first 2 shown]
	v_add_f64_e32 v[14:15], v[81:82], v[67:68]
	v_fma_f64 v[46:47], v[46:47], -0.5, v[12:13]
	v_add_f64_e32 v[12:13], v[83:84], v[22:23]
	v_fma_f64 v[57:58], v[57:58], -0.5, v[0:1]
	;; [unrolled: 2-line block ×3, first 2 shown]
	v_add_f64_e32 v[2:3], v[71:72], v[65:66]
	v_add_f64_e32 v[8:9], v[79:80], v[42:43]
	;; [unrolled: 1-line block ×5, first 2 shown]
	v_fma_f64 v[22:23], v[69:70], s[6:7], v[36:37]
	v_fma_f64 v[18:19], v[69:70], s[2:3], v[36:37]
	;; [unrolled: 1-line block ×16, first 2 shown]
	v_lshrrev_b32_e32 v55, 5, v89
	v_lshlrev_b64_e32 v[53:54], 4, v[50:51]
	v_lshrrev_b32_e32 v50, 5, v90
	s_delay_alu instid0(VALU_DEP_3) | instskip(SKIP_3) | instid1(VALU_DEP_3)
	v_mul_u32_u24_e32 v51, 0x3a8, v55
	v_add_co_u32 v55, vcc_lo, s8, v48
	s_wait_alu 0xfffd
	v_add_co_ci_u32_e32 v56, vcc_lo, s9, v49, vcc_lo
	v_lshlrev_b64_e32 v[48:49], 4, v[51:52]
	v_mul_u32_u24_e32 v51, 0x3a8, v50
	v_add_co_u32 v53, vcc_lo, v55, v53
	s_wait_alu 0xfffd
	v_add_co_ci_u32_e32 v54, vcc_lo, v56, v54, vcc_lo
	s_delay_alu instid0(VALU_DEP_3) | instskip(NEXT) | instid1(VALU_DEP_3)
	v_lshlrev_b64_e32 v[50:51], 4, v[51:52]
	v_add_co_u32 v48, vcc_lo, v53, v48
	s_wait_alu 0xfffd
	s_delay_alu instid0(VALU_DEP_3) | instskip(NEXT) | instid1(VALU_DEP_3)
	v_add_co_ci_u32_e32 v49, vcc_lo, v54, v49, vcc_lo
	v_add_co_u32 v50, vcc_lo, v53, v50
	s_wait_alu 0xfffd
	v_add_co_ci_u32_e32 v51, vcc_lo, v54, v51, vcc_lo
	s_clause 0xb
	global_store_b128 v[53:54], v[0:3], off
	global_store_b128 v[53:54], v[12:15], off offset:1872
	global_store_b128 v[53:54], v[20:23], off offset:7488
	;; [unrolled: 1-line block ×11, first 2 shown]
.LBB0_21:
	s_nop 0
	s_sendmsg sendmsg(MSG_DEALLOC_VGPRS)
	s_endpgm
	.section	.rodata,"a",@progbits
	.p2align	6, 0x0
	.amdhsa_kernel fft_rtc_back_len1404_factors_2_2_3_13_3_3_wgs_117_tpt_117_halfLds_dp_ip_CI_unitstride_sbrr_dirReg
		.amdhsa_group_segment_fixed_size 0
		.amdhsa_private_segment_fixed_size 0
		.amdhsa_kernarg_size 88
		.amdhsa_user_sgpr_count 2
		.amdhsa_user_sgpr_dispatch_ptr 0
		.amdhsa_user_sgpr_queue_ptr 0
		.amdhsa_user_sgpr_kernarg_segment_ptr 1
		.amdhsa_user_sgpr_dispatch_id 0
		.amdhsa_user_sgpr_private_segment_size 0
		.amdhsa_wavefront_size32 1
		.amdhsa_uses_dynamic_stack 0
		.amdhsa_enable_private_segment 0
		.amdhsa_system_sgpr_workgroup_id_x 1
		.amdhsa_system_sgpr_workgroup_id_y 0
		.amdhsa_system_sgpr_workgroup_id_z 0
		.amdhsa_system_sgpr_workgroup_info 0
		.amdhsa_system_vgpr_workitem_id 0
		.amdhsa_next_free_vgpr 164
		.amdhsa_next_free_sgpr 42
		.amdhsa_reserve_vcc 1
		.amdhsa_float_round_mode_32 0
		.amdhsa_float_round_mode_16_64 0
		.amdhsa_float_denorm_mode_32 3
		.amdhsa_float_denorm_mode_16_64 3
		.amdhsa_fp16_overflow 0
		.amdhsa_workgroup_processor_mode 1
		.amdhsa_memory_ordered 1
		.amdhsa_forward_progress 0
		.amdhsa_round_robin_scheduling 0
		.amdhsa_exception_fp_ieee_invalid_op 0
		.amdhsa_exception_fp_denorm_src 0
		.amdhsa_exception_fp_ieee_div_zero 0
		.amdhsa_exception_fp_ieee_overflow 0
		.amdhsa_exception_fp_ieee_underflow 0
		.amdhsa_exception_fp_ieee_inexact 0
		.amdhsa_exception_int_div_zero 0
	.end_amdhsa_kernel
	.text
.Lfunc_end0:
	.size	fft_rtc_back_len1404_factors_2_2_3_13_3_3_wgs_117_tpt_117_halfLds_dp_ip_CI_unitstride_sbrr_dirReg, .Lfunc_end0-fft_rtc_back_len1404_factors_2_2_3_13_3_3_wgs_117_tpt_117_halfLds_dp_ip_CI_unitstride_sbrr_dirReg
                                        ; -- End function
	.section	.AMDGPU.csdata,"",@progbits
; Kernel info:
; codeLenInByte = 10664
; NumSgprs: 44
; NumVgprs: 164
; ScratchSize: 0
; MemoryBound: 1
; FloatMode: 240
; IeeeMode: 1
; LDSByteSize: 0 bytes/workgroup (compile time only)
; SGPRBlocks: 5
; VGPRBlocks: 20
; NumSGPRsForWavesPerEU: 44
; NumVGPRsForWavesPerEU: 164
; Occupancy: 9
; WaveLimiterHint : 1
; COMPUTE_PGM_RSRC2:SCRATCH_EN: 0
; COMPUTE_PGM_RSRC2:USER_SGPR: 2
; COMPUTE_PGM_RSRC2:TRAP_HANDLER: 0
; COMPUTE_PGM_RSRC2:TGID_X_EN: 1
; COMPUTE_PGM_RSRC2:TGID_Y_EN: 0
; COMPUTE_PGM_RSRC2:TGID_Z_EN: 0
; COMPUTE_PGM_RSRC2:TIDIG_COMP_CNT: 0
	.text
	.p2alignl 7, 3214868480
	.fill 96, 4, 3214868480
	.type	__hip_cuid_2f8c68bd0d75b486,@object ; @__hip_cuid_2f8c68bd0d75b486
	.section	.bss,"aw",@nobits
	.globl	__hip_cuid_2f8c68bd0d75b486
__hip_cuid_2f8c68bd0d75b486:
	.byte	0                               ; 0x0
	.size	__hip_cuid_2f8c68bd0d75b486, 1

	.ident	"AMD clang version 19.0.0git (https://github.com/RadeonOpenCompute/llvm-project roc-6.4.0 25133 c7fe45cf4b819c5991fe208aaa96edf142730f1d)"
	.section	".note.GNU-stack","",@progbits
	.addrsig
	.addrsig_sym __hip_cuid_2f8c68bd0d75b486
	.amdgpu_metadata
---
amdhsa.kernels:
  - .args:
      - .actual_access:  read_only
        .address_space:  global
        .offset:         0
        .size:           8
        .value_kind:     global_buffer
      - .offset:         8
        .size:           8
        .value_kind:     by_value
      - .actual_access:  read_only
        .address_space:  global
        .offset:         16
        .size:           8
        .value_kind:     global_buffer
      - .actual_access:  read_only
        .address_space:  global
        .offset:         24
        .size:           8
        .value_kind:     global_buffer
      - .offset:         32
        .size:           8
        .value_kind:     by_value
      - .actual_access:  read_only
        .address_space:  global
        .offset:         40
        .size:           8
        .value_kind:     global_buffer
      - .actual_access:  read_only
        .address_space:  global
        .offset:         48
        .size:           8
        .value_kind:     global_buffer
      - .offset:         56
        .size:           4
        .value_kind:     by_value
      - .actual_access:  read_only
        .address_space:  global
        .offset:         64
        .size:           8
        .value_kind:     global_buffer
      - .actual_access:  read_only
        .address_space:  global
        .offset:         72
        .size:           8
        .value_kind:     global_buffer
      - .address_space:  global
        .offset:         80
        .size:           8
        .value_kind:     global_buffer
    .group_segment_fixed_size: 0
    .kernarg_segment_align: 8
    .kernarg_segment_size: 88
    .language:       OpenCL C
    .language_version:
      - 2
      - 0
    .max_flat_workgroup_size: 117
    .name:           fft_rtc_back_len1404_factors_2_2_3_13_3_3_wgs_117_tpt_117_halfLds_dp_ip_CI_unitstride_sbrr_dirReg
    .private_segment_fixed_size: 0
    .sgpr_count:     44
    .sgpr_spill_count: 0
    .symbol:         fft_rtc_back_len1404_factors_2_2_3_13_3_3_wgs_117_tpt_117_halfLds_dp_ip_CI_unitstride_sbrr_dirReg.kd
    .uniform_work_group_size: 1
    .uses_dynamic_stack: false
    .vgpr_count:     164
    .vgpr_spill_count: 0
    .wavefront_size: 32
    .workgroup_processor_mode: 1
amdhsa.target:   amdgcn-amd-amdhsa--gfx1201
amdhsa.version:
  - 1
  - 2
...

	.end_amdgpu_metadata
